;; amdgpu-corpus repo=ROCm/rocFFT kind=compiled arch=gfx1030 opt=O3
	.text
	.amdgcn_target "amdgcn-amd-amdhsa--gfx1030"
	.amdhsa_code_object_version 6
	.protected	fft_rtc_fwd_len300_factors_10_10_3_wgs_60_tpt_30_halfLds_half_ip_CI_unitstride_sbrr_C2R_dirReg ; -- Begin function fft_rtc_fwd_len300_factors_10_10_3_wgs_60_tpt_30_halfLds_half_ip_CI_unitstride_sbrr_C2R_dirReg
	.globl	fft_rtc_fwd_len300_factors_10_10_3_wgs_60_tpt_30_halfLds_half_ip_CI_unitstride_sbrr_C2R_dirReg
	.p2align	8
	.type	fft_rtc_fwd_len300_factors_10_10_3_wgs_60_tpt_30_halfLds_half_ip_CI_unitstride_sbrr_C2R_dirReg,@function
fft_rtc_fwd_len300_factors_10_10_3_wgs_60_tpt_30_halfLds_half_ip_CI_unitstride_sbrr_C2R_dirReg: ; @fft_rtc_fwd_len300_factors_10_10_3_wgs_60_tpt_30_halfLds_half_ip_CI_unitstride_sbrr_C2R_dirReg
; %bb.0:
	s_clause 0x2
	s_load_dwordx4 s[8:11], s[4:5], 0x0
	s_load_dwordx2 s[2:3], s[4:5], 0x50
	s_load_dwordx2 s[12:13], s[4:5], 0x18
	v_mul_u32_u24_e32 v1, 0x889, v0
	v_mov_b32_e32 v3, 0
	v_lshrrev_b32_e32 v9, 16, v1
	v_mov_b32_e32 v1, 0
	v_mov_b32_e32 v6, v3
	v_mov_b32_e32 v2, 0
	v_lshl_add_u32 v5, s6, 1, v9
	s_waitcnt lgkmcnt(0)
	v_cmp_lt_u64_e64 s0, s[10:11], 2
	s_and_b32 vcc_lo, exec_lo, s0
	s_cbranch_vccnz .LBB0_8
; %bb.1:
	s_load_dwordx2 s[0:1], s[4:5], 0x10
	v_mov_b32_e32 v1, 0
	s_add_u32 s6, s12, 8
	v_mov_b32_e32 v2, 0
	s_addc_u32 s7, s13, 0
	s_mov_b64 s[16:17], 1
	s_waitcnt lgkmcnt(0)
	s_add_u32 s14, s0, 8
	s_addc_u32 s15, s1, 0
.LBB0_2:                                ; =>This Inner Loop Header: Depth=1
	s_load_dwordx2 s[18:19], s[14:15], 0x0
                                        ; implicit-def: $vgpr7_vgpr8
	s_mov_b32 s0, exec_lo
	s_waitcnt lgkmcnt(0)
	v_or_b32_e32 v4, s19, v6
	v_cmpx_ne_u64_e32 0, v[3:4]
	s_xor_b32 s1, exec_lo, s0
	s_cbranch_execz .LBB0_4
; %bb.3:                                ;   in Loop: Header=BB0_2 Depth=1
	v_cvt_f32_u32_e32 v4, s18
	v_cvt_f32_u32_e32 v7, s19
	s_sub_u32 s0, 0, s18
	s_subb_u32 s20, 0, s19
	v_fmac_f32_e32 v4, 0x4f800000, v7
	v_rcp_f32_e32 v4, v4
	v_mul_f32_e32 v4, 0x5f7ffffc, v4
	v_mul_f32_e32 v7, 0x2f800000, v4
	v_trunc_f32_e32 v7, v7
	v_fmac_f32_e32 v4, 0xcf800000, v7
	v_cvt_u32_f32_e32 v7, v7
	v_cvt_u32_f32_e32 v4, v4
	v_mul_lo_u32 v8, s0, v7
	v_mul_hi_u32 v10, s0, v4
	v_mul_lo_u32 v11, s20, v4
	v_add_nc_u32_e32 v8, v10, v8
	v_mul_lo_u32 v10, s0, v4
	v_add_nc_u32_e32 v8, v8, v11
	v_mul_hi_u32 v11, v4, v10
	v_mul_lo_u32 v12, v4, v8
	v_mul_hi_u32 v13, v4, v8
	v_mul_hi_u32 v14, v7, v10
	v_mul_lo_u32 v10, v7, v10
	v_mul_hi_u32 v15, v7, v8
	v_mul_lo_u32 v8, v7, v8
	v_add_co_u32 v11, vcc_lo, v11, v12
	v_add_co_ci_u32_e32 v12, vcc_lo, 0, v13, vcc_lo
	v_add_co_u32 v10, vcc_lo, v11, v10
	v_add_co_ci_u32_e32 v10, vcc_lo, v12, v14, vcc_lo
	v_add_co_ci_u32_e32 v11, vcc_lo, 0, v15, vcc_lo
	v_add_co_u32 v8, vcc_lo, v10, v8
	v_add_co_ci_u32_e32 v10, vcc_lo, 0, v11, vcc_lo
	v_add_co_u32 v4, vcc_lo, v4, v8
	v_add_co_ci_u32_e32 v7, vcc_lo, v7, v10, vcc_lo
	v_mul_hi_u32 v8, s0, v4
	v_mul_lo_u32 v11, s20, v4
	v_mul_lo_u32 v10, s0, v7
	v_add_nc_u32_e32 v8, v8, v10
	v_mul_lo_u32 v10, s0, v4
	v_add_nc_u32_e32 v8, v8, v11
	v_mul_hi_u32 v11, v4, v10
	v_mul_lo_u32 v12, v4, v8
	v_mul_hi_u32 v13, v4, v8
	v_mul_hi_u32 v14, v7, v10
	v_mul_lo_u32 v10, v7, v10
	v_mul_hi_u32 v15, v7, v8
	v_mul_lo_u32 v8, v7, v8
	v_add_co_u32 v11, vcc_lo, v11, v12
	v_add_co_ci_u32_e32 v12, vcc_lo, 0, v13, vcc_lo
	v_add_co_u32 v10, vcc_lo, v11, v10
	v_add_co_ci_u32_e32 v10, vcc_lo, v12, v14, vcc_lo
	v_add_co_ci_u32_e32 v11, vcc_lo, 0, v15, vcc_lo
	v_add_co_u32 v8, vcc_lo, v10, v8
	v_add_co_ci_u32_e32 v10, vcc_lo, 0, v11, vcc_lo
	v_add_co_u32 v4, vcc_lo, v4, v8
	v_add_co_ci_u32_e32 v12, vcc_lo, v7, v10, vcc_lo
	v_mul_hi_u32 v14, v5, v4
	v_mad_u64_u32 v[10:11], null, v6, v4, 0
	v_mad_u64_u32 v[7:8], null, v5, v12, 0
	;; [unrolled: 1-line block ×3, first 2 shown]
	v_add_co_u32 v4, vcc_lo, v14, v7
	v_add_co_ci_u32_e32 v7, vcc_lo, 0, v8, vcc_lo
	v_add_co_u32 v4, vcc_lo, v4, v10
	v_add_co_ci_u32_e32 v4, vcc_lo, v7, v11, vcc_lo
	v_add_co_ci_u32_e32 v7, vcc_lo, 0, v13, vcc_lo
	v_add_co_u32 v4, vcc_lo, v4, v12
	v_add_co_ci_u32_e32 v10, vcc_lo, 0, v7, vcc_lo
	v_mul_lo_u32 v11, s19, v4
	v_mad_u64_u32 v[7:8], null, s18, v4, 0
	v_mul_lo_u32 v12, s18, v10
	v_sub_co_u32 v7, vcc_lo, v5, v7
	v_add3_u32 v8, v8, v12, v11
	v_sub_nc_u32_e32 v11, v6, v8
	v_subrev_co_ci_u32_e64 v11, s0, s19, v11, vcc_lo
	v_add_co_u32 v12, s0, v4, 2
	v_add_co_ci_u32_e64 v13, s0, 0, v10, s0
	v_sub_co_u32 v14, s0, v7, s18
	v_sub_co_ci_u32_e32 v8, vcc_lo, v6, v8, vcc_lo
	v_subrev_co_ci_u32_e64 v11, s0, 0, v11, s0
	v_cmp_le_u32_e32 vcc_lo, s18, v14
	v_cmp_eq_u32_e64 s0, s19, v8
	v_cndmask_b32_e64 v14, 0, -1, vcc_lo
	v_cmp_le_u32_e32 vcc_lo, s19, v11
	v_cndmask_b32_e64 v15, 0, -1, vcc_lo
	v_cmp_le_u32_e32 vcc_lo, s18, v7
	;; [unrolled: 2-line block ×3, first 2 shown]
	v_cndmask_b32_e64 v16, 0, -1, vcc_lo
	v_cmp_eq_u32_e32 vcc_lo, s19, v11
	v_cndmask_b32_e64 v7, v16, v7, s0
	v_cndmask_b32_e32 v11, v15, v14, vcc_lo
	v_add_co_u32 v14, vcc_lo, v4, 1
	v_add_co_ci_u32_e32 v15, vcc_lo, 0, v10, vcc_lo
	v_cmp_ne_u32_e32 vcc_lo, 0, v11
	v_cndmask_b32_e32 v8, v15, v13, vcc_lo
	v_cndmask_b32_e32 v11, v14, v12, vcc_lo
	v_cmp_ne_u32_e32 vcc_lo, 0, v7
	v_cndmask_b32_e32 v8, v10, v8, vcc_lo
	v_cndmask_b32_e32 v7, v4, v11, vcc_lo
.LBB0_4:                                ;   in Loop: Header=BB0_2 Depth=1
	s_andn2_saveexec_b32 s0, s1
	s_cbranch_execz .LBB0_6
; %bb.5:                                ;   in Loop: Header=BB0_2 Depth=1
	v_cvt_f32_u32_e32 v4, s18
	s_sub_i32 s1, 0, s18
	v_rcp_iflag_f32_e32 v4, v4
	v_mul_f32_e32 v4, 0x4f7ffffe, v4
	v_cvt_u32_f32_e32 v4, v4
	v_mul_lo_u32 v7, s1, v4
	v_mul_hi_u32 v7, v4, v7
	v_add_nc_u32_e32 v4, v4, v7
	v_mul_hi_u32 v4, v5, v4
	v_mul_lo_u32 v7, v4, s18
	v_add_nc_u32_e32 v8, 1, v4
	v_sub_nc_u32_e32 v7, v5, v7
	v_subrev_nc_u32_e32 v10, s18, v7
	v_cmp_le_u32_e32 vcc_lo, s18, v7
	v_cndmask_b32_e32 v7, v7, v10, vcc_lo
	v_cndmask_b32_e32 v4, v4, v8, vcc_lo
	v_cmp_le_u32_e32 vcc_lo, s18, v7
	v_add_nc_u32_e32 v8, 1, v4
	v_cndmask_b32_e32 v7, v4, v8, vcc_lo
	v_mov_b32_e32 v8, v3
.LBB0_6:                                ;   in Loop: Header=BB0_2 Depth=1
	s_or_b32 exec_lo, exec_lo, s0
	s_load_dwordx2 s[0:1], s[6:7], 0x0
	v_mul_lo_u32 v4, v8, s18
	v_mul_lo_u32 v12, v7, s19
	v_mad_u64_u32 v[10:11], null, v7, s18, 0
	s_add_u32 s16, s16, 1
	s_addc_u32 s17, s17, 0
	s_add_u32 s6, s6, 8
	s_addc_u32 s7, s7, 0
	;; [unrolled: 2-line block ×3, first 2 shown]
	v_add3_u32 v4, v11, v12, v4
	v_sub_co_u32 v5, vcc_lo, v5, v10
	v_sub_co_ci_u32_e32 v4, vcc_lo, v6, v4, vcc_lo
	s_waitcnt lgkmcnt(0)
	v_mul_lo_u32 v6, s1, v5
	v_mul_lo_u32 v4, s0, v4
	v_mad_u64_u32 v[1:2], null, s0, v5, v[1:2]
	v_cmp_ge_u64_e64 s0, s[16:17], s[10:11]
	s_and_b32 vcc_lo, exec_lo, s0
	v_add3_u32 v2, v6, v2, v4
	s_cbranch_vccnz .LBB0_9
; %bb.7:                                ;   in Loop: Header=BB0_2 Depth=1
	v_mov_b32_e32 v5, v7
	v_mov_b32_e32 v6, v8
	s_branch .LBB0_2
.LBB0_8:
	v_mov_b32_e32 v8, v6
	v_mov_b32_e32 v7, v5
.LBB0_9:
	s_lshl_b64 s[0:1], s[10:11], 3
	v_and_b32_e32 v6, 1, v9
	s_add_u32 s0, s12, s0
	s_addc_u32 s1, s13, s1
	v_mul_hi_u32 v3, 0x8888889, v0
	s_load_dwordx2 s[0:1], s[0:1], 0x0
	s_load_dwordx2 s[4:5], s[4:5], 0x20
	v_cmp_eq_u32_e32 vcc_lo, 1, v6
	v_cndmask_b32_e64 v6, 0, 0x12d, vcc_lo
	v_mul_u32_u24_e32 v3, 30, v3
	v_lshlrev_b32_e32 v17, 2, v6
	v_sub_nc_u32_e32 v0, v0, v3
	s_waitcnt lgkmcnt(0)
	v_mul_lo_u32 v4, s0, v8
	v_mul_lo_u32 v5, s1, v7
	v_mad_u64_u32 v[1:2], null, s0, v7, v[1:2]
	v_cmp_gt_u64_e32 vcc_lo, s[4:5], v[7:8]
	v_add3_u32 v2, v5, v2, v4
	v_lshlrev_b64 v[2:3], 2, v[1:2]
	s_and_saveexec_b32 s1, vcc_lo
	s_cbranch_execz .LBB0_13
; %bb.10:
	v_mov_b32_e32 v1, 0
	v_add_co_u32 v4, s0, s2, v2
	v_add_co_ci_u32_e64 v5, s0, s3, v3, s0
	v_lshlrev_b64 v[7:8], 2, v[0:1]
	v_lshlrev_b32_e32 v1, 2, v0
	s_mov_b32 s4, exec_lo
	v_add3_u32 v1, 0, v17, v1
	v_add_co_u32 v7, s0, v4, v7
	v_add_co_ci_u32_e64 v8, s0, v5, v8, s0
	s_clause 0x9
	global_load_dword v9, v[7:8], off
	global_load_dword v10, v[7:8], off offset:120
	global_load_dword v11, v[7:8], off offset:240
	;; [unrolled: 1-line block ×9, first 2 shown]
	v_add_nc_u32_e32 v8, 0x200, v1
	s_waitcnt vmcnt(8)
	ds_write2_b32 v1, v9, v10 offset1:30
	s_waitcnt vmcnt(6)
	ds_write2_b32 v1, v11, v12 offset0:60 offset1:90
	s_waitcnt vmcnt(4)
	ds_write2_b32 v1, v13, v14 offset0:120 offset1:150
	s_waitcnt vmcnt(2)
	ds_write2_b32 v1, v15, v16 offset0:180 offset1:210
	s_waitcnt vmcnt(0)
	ds_write2_b32 v8, v18, v7 offset0:112 offset1:142
	v_cmpx_eq_u32_e32 29, v0
	s_cbranch_execz .LBB0_12
; %bb.11:
	global_load_dword v4, v[4:5], off offset:1200
	v_mov_b32_e32 v0, 29
	s_waitcnt vmcnt(0)
	ds_write_b32 v1, v4 offset:1084
.LBB0_12:
	s_or_b32 exec_lo, exec_lo, s4
.LBB0_13:
	s_or_b32 exec_lo, exec_lo, s1
	v_lshl_add_u32 v16, v6, 2, 0
	v_lshlrev_b32_e32 v1, 2, v0
	s_waitcnt lgkmcnt(0)
	s_barrier
	buffer_gl0_inv
	s_mov_b32 s1, exec_lo
	v_add_nc_u32_e32 v6, v16, v1
	v_sub_nc_u32_e32 v7, v16, v1
                                        ; implicit-def: $vgpr4_vgpr5
	ds_read_u16 v10, v6
	ds_read_u16 v11, v7 offset:1200
	s_waitcnt lgkmcnt(0)
	v_add_f16_e32 v9, v11, v10
	v_sub_f16_e32 v8, v10, v11
	v_cmpx_ne_u32_e32 0, v0
	s_xor_b32 s1, exec_lo, s1
	s_cbranch_execz .LBB0_15
; %bb.14:
	v_mov_b32_e32 v1, 0
	v_add_f16_e32 v9, v11, v10
	v_sub_f16_e32 v10, v10, v11
	v_lshlrev_b64 v[4:5], 2, v[0:1]
	v_add_co_u32 v4, s0, s8, v4
	v_add_co_ci_u32_e64 v5, s0, s9, v5, s0
	global_load_dword v4, v[4:5], off offset:1160
	ds_read_u16 v5, v7 offset:1202
	ds_read_u16 v8, v6 offset:2
	s_waitcnt lgkmcnt(0)
	v_add_f16_e32 v11, v5, v8
	v_sub_f16_e32 v5, v8, v5
	s_waitcnt vmcnt(0)
	v_lshrrev_b32_e32 v12, 16, v4
	v_fma_f16 v13, -v10, v12, v9
	v_fma_f16 v14, v11, v12, -v5
	v_fma_f16 v8, v11, v12, v5
	v_fma_f16 v9, v10, v12, v9
	v_fmac_f16_e32 v13, v4, v11
	v_fmac_f16_e32 v14, v10, v4
	;; [unrolled: 1-line block ×3, first 2 shown]
	v_fma_f16 v9, -v4, v11, v9
	v_mov_b32_e32 v5, v1
	v_mov_b32_e32 v4, v0
	v_pack_b32_f16 v10, v13, v14
	ds_write_b32 v7, v10 offset:1200
.LBB0_15:
	s_andn2_saveexec_b32 s0, s1
	s_cbranch_execz .LBB0_17
; %bb.16:
	ds_read_b32 v1, v16 offset:600
	v_mov_b32_e32 v4, 0
	v_mov_b32_e32 v5, 0
	s_waitcnt lgkmcnt(0)
	v_pk_mul_f16 v1, 0xc0004000, v1
	ds_write_b32 v16, v1 offset:600
.LBB0_17:
	s_or_b32 exec_lo, exec_lo, s0
	v_lshlrev_b64 v[4:5], 2, v[4:5]
	s_add_u32 s0, s8, 0x488
	s_addc_u32 s1, s9, 0
	v_mov_b32_e32 v19, 9
	v_add_co_u32 v4, s0, s0, v4
	v_add_co_ci_u32_e64 v5, s0, s1, v5, s0
	v_cmp_gt_u32_e64 s0, 10, v0
	s_clause 0x3
	global_load_dword v1, v[4:5], off offset:120
	global_load_dword v10, v[4:5], off offset:240
	;; [unrolled: 1-line block ×4, first 2 shown]
	v_perm_b32 v5, v8, v9, 0x5040100
	ds_write_b32 v6, v5
	ds_read_b32 v5, v6 offset:120
	ds_read_b32 v8, v7 offset:1080
	s_waitcnt lgkmcnt(0)
	v_add_f16_e32 v9, v5, v8
	v_add_f16_sdwa v12, v8, v5 dst_sel:DWORD dst_unused:UNUSED_PAD src0_sel:WORD_1 src1_sel:WORD_1
	v_sub_f16_e32 v13, v5, v8
	v_sub_f16_sdwa v5, v5, v8 dst_sel:DWORD dst_unused:UNUSED_PAD src0_sel:WORD_1 src1_sel:WORD_1
	s_waitcnt vmcnt(3)
	v_lshrrev_b32_e32 v14, 16, v1
	v_fma_f16 v8, v13, v14, v9
	v_fma_f16 v15, v12, v14, v5
	v_fma_f16 v9, -v13, v14, v9
	v_fma_f16 v5, v12, v14, -v5
	v_fma_f16 v8, -v1, v12, v8
	v_fmac_f16_e32 v15, v13, v1
	v_fmac_f16_e32 v9, v1, v12
	;; [unrolled: 1-line block ×3, first 2 shown]
	v_pack_b32_f16 v1, v8, v15
	s_waitcnt vmcnt(2)
	v_lshrrev_b32_e32 v8, 16, v10
	v_pack_b32_f16 v5, v9, v5
	ds_write_b32 v6, v1 offset:120
	ds_write_b32 v7, v5 offset:1080
	ds_read_b32 v1, v6 offset:240
	ds_read_b32 v5, v7 offset:960
	s_waitcnt lgkmcnt(0)
	v_add_f16_e32 v9, v1, v5
	v_add_f16_sdwa v12, v5, v1 dst_sel:DWORD dst_unused:UNUSED_PAD src0_sel:WORD_1 src1_sel:WORD_1
	v_sub_f16_e32 v13, v1, v5
	v_sub_f16_sdwa v1, v1, v5 dst_sel:DWORD dst_unused:UNUSED_PAD src0_sel:WORD_1 src1_sel:WORD_1
	v_fma_f16 v5, v13, v8, v9
	v_fma_f16 v14, v12, v8, v1
	v_fma_f16 v9, -v13, v8, v9
	v_fma_f16 v1, v12, v8, -v1
	s_waitcnt vmcnt(1)
	v_lshrrev_b32_e32 v8, 16, v11
	v_fma_f16 v5, -v10, v12, v5
	v_fmac_f16_e32 v14, v13, v10
	v_fmac_f16_e32 v9, v10, v12
	;; [unrolled: 1-line block ×3, first 2 shown]
	v_pack_b32_f16 v5, v5, v14
	v_lshl_add_u32 v14, v0, 2, 0
	v_pack_b32_f16 v1, v9, v1
	ds_write_b32 v6, v5 offset:240
	ds_write_b32 v7, v1 offset:960
	ds_read_b32 v1, v6 offset:360
	ds_read_b32 v5, v7 offset:840
	v_mad_u32_u24 v18, v0, 36, v14
	s_waitcnt lgkmcnt(0)
	v_add_f16_e32 v9, v1, v5
	v_add_f16_sdwa v10, v5, v1 dst_sel:DWORD dst_unused:UNUSED_PAD src0_sel:WORD_1 src1_sel:WORD_1
	v_sub_f16_e32 v12, v1, v5
	v_sub_f16_sdwa v1, v1, v5 dst_sel:DWORD dst_unused:UNUSED_PAD src0_sel:WORD_1 src1_sel:WORD_1
	v_fma_f16 v5, v12, v8, v9
	v_fma_f16 v13, v10, v8, v1
	v_fma_f16 v9, -v12, v8, v9
	v_fma_f16 v1, v10, v8, -v1
	s_waitcnt vmcnt(0)
	v_lshrrev_b32_e32 v8, 16, v4
	v_fma_f16 v5, -v11, v10, v5
	v_fmac_f16_e32 v13, v12, v11
	v_fmac_f16_e32 v9, v11, v10
	;; [unrolled: 1-line block ×3, first 2 shown]
	v_pack_b32_f16 v5, v5, v13
	v_pack_b32_f16 v1, v9, v1
	ds_write_b32 v6, v5 offset:360
	ds_write_b32 v7, v1 offset:840
	ds_read_b32 v1, v6 offset:480
	ds_read_b32 v5, v7 offset:720
	s_waitcnt lgkmcnt(0)
	v_add_f16_e32 v9, v1, v5
	v_add_f16_sdwa v10, v5, v1 dst_sel:DWORD dst_unused:UNUSED_PAD src0_sel:WORD_1 src1_sel:WORD_1
	v_sub_f16_e32 v11, v1, v5
	v_sub_f16_sdwa v1, v1, v5 dst_sel:DWORD dst_unused:UNUSED_PAD src0_sel:WORD_1 src1_sel:WORD_1
	v_and_b32_e32 v5, 0xff, v0
	v_fma_f16 v12, v11, v8, v9
	v_fma_f16 v13, v10, v8, v1
	v_mul_lo_u16 v5, 0xcd, v5
	v_fma_f16 v9, -v11, v8, v9
	v_fma_f16 v1, v10, v8, -v1
	v_fma_f16 v8, -v4, v10, v12
	v_fmac_f16_e32 v13, v11, v4
	v_lshrrev_b16 v15, 11, v5
	v_fmac_f16_e32 v9, v4, v10
	v_fmac_f16_e32 v1, v11, v4
	v_pack_b32_f16 v4, v8, v13
	v_mul_lo_u16 v13, v15, 10
	v_and_b32_e32 v15, 0xffff, v15
	v_pack_b32_f16 v5, v9, v1
	v_add_nc_u32_e32 v1, v14, v17
	ds_write_b32 v6, v4 offset:480
	ds_write_b32 v7, v5 offset:720
	v_sub_nc_u16 v25, v0, v13
	s_waitcnt lgkmcnt(0)
	s_barrier
	buffer_gl0_inv
	v_mul_u32_u24_sdwa v14, v25, v19 dst_sel:DWORD dst_unused:UNUSED_PAD src0_sel:BYTE_0 src1_sel:DWORD
	s_barrier
	buffer_gl0_inv
	ds_read2_b32 v[4:5], v1 offset0:30 offset1:60
	ds_read2_b32 v[7:8], v1 offset0:90 offset1:120
	;; [unrolled: 1-line block ×4, first 2 shown]
	ds_read_b32 v13, v6
	v_lshlrev_b32_e32 v20, 2, v14
	ds_read_b32 v14, v1 offset:1080
	v_add_nc_u32_e32 v19, v18, v17
	s_waitcnt lgkmcnt(0)
	s_barrier
	buffer_gl0_inv
	v_mad_u32_u24 v15, 0x190, v15, 0
	v_lshrrev_b32_e32 v49, 16, v4
	v_sub_f16_e32 v26, v5, v8
	v_sub_f16_e32 v29, v8, v5
	;; [unrolled: 1-line block ×4, first 2 shown]
	v_add_f16_e32 v39, v9, v11
	v_sub_f16_sdwa v35, v5, v8 dst_sel:DWORD dst_unused:UNUSED_PAD src0_sel:WORD_1 src1_sel:WORD_1
	v_sub_f16_sdwa v36, v12, v10 dst_sel:DWORD dst_unused:UNUSED_PAD src0_sel:WORD_1 src1_sel:WORD_1
	v_add_f16_e32 v44, v7, v14
	v_add_f16_sdwa v48, v9, v11 dst_sel:DWORD dst_unused:UNUSED_PAD src0_sel:WORD_1 src1_sel:WORD_1
	v_add_f16_sdwa v54, v7, v14 dst_sel:DWORD dst_unused:UNUSED_PAD src0_sel:WORD_1 src1_sel:WORD_1
	v_pk_add_f16 v47, v4, v7
	v_add_f16_e32 v21, v8, v10
	v_add_f16_e32 v27, v5, v12
	v_pk_add_f16 v30, v13, v5
	v_add_f16_sdwa v31, v8, v10 dst_sel:DWORD dst_unused:UNUSED_PAD src0_sel:WORD_1 src1_sel:WORD_1
	v_lshrrev_b32_e32 v32, 16, v13
	v_add_f16_sdwa v37, v5, v12 dst_sel:DWORD dst_unused:UNUSED_PAD src0_sel:WORD_1 src1_sel:WORD_1
	v_sub_f16_sdwa v40, v7, v14 dst_sel:DWORD dst_unused:UNUSED_PAD src0_sel:WORD_1 src1_sel:WORD_1
	v_sub_f16_e32 v42, v14, v11
	v_sub_f16_e32 v43, v7, v9
	v_add_f16_e32 v24, v26, v24
	v_add_f16_e32 v26, v29, v28
	v_fma_f16 v29, -0.5, v39, v4
	v_sub_f16_sdwa v41, v9, v11 dst_sel:DWORD dst_unused:UNUSED_PAD src0_sel:WORD_1 src1_sel:WORD_1
	v_sub_f16_e32 v51, v9, v11
	v_add_f16_e32 v28, v35, v36
	v_fma_f16 v4, -0.5, v44, v4
	v_fma_f16 v35, -0.5, v48, v49
	v_fmac_f16_e32 v49, -0.5, v54
	v_sub_f16_e32 v46, v9, v7
	v_sub_f16_e32 v50, v7, v14
	v_sub_f16_sdwa v52, v7, v9 dst_sel:DWORD dst_unused:UNUSED_PAD src0_sel:WORD_1 src1_sel:WORD_1
	v_sub_f16_sdwa v7, v9, v7 dst_sel:DWORD dst_unused:UNUSED_PAD src0_sel:WORD_1 src1_sel:WORD_1
	v_pk_add_f16 v9, v47, v9
	v_sub_f16_sdwa v22, v5, v12 dst_sel:DWORD dst_unused:UNUSED_PAD src0_sel:WORD_1 src1_sel:WORD_1
	v_sub_f16_sdwa v23, v8, v10 dst_sel:DWORD dst_unused:UNUSED_PAD src0_sel:WORD_1 src1_sel:WORD_1
	v_sub_f16_e32 v33, v5, v12
	v_sub_f16_e32 v34, v8, v10
	v_sub_f16_sdwa v5, v8, v5 dst_sel:DWORD dst_unused:UNUSED_PAD src0_sel:WORD_1 src1_sel:WORD_1
	v_fma_f16 v21, -0.5, v21, v13
	v_fma_f16 v13, -0.5, v27, v13
	v_pk_add_f16 v8, v30, v8
	v_fma_f16 v27, -0.5, v31, v32
	v_fmac_f16_e32 v32, -0.5, v37
	v_add_f16_e32 v30, v43, v42
	v_fmamk_f16 v42, v40, 0x3b9c, v29
	v_sub_f16_e32 v45, v11, v14
	v_sub_f16_sdwa v55, v11, v14 dst_sel:DWORD dst_unused:UNUSED_PAD src0_sel:WORD_1 src1_sel:WORD_1
	v_fmamk_f16 v43, v41, 0xbb9c, v4
	v_fmac_f16_e32 v4, 0x3b9c, v41
	v_fmamk_f16 v44, v51, 0x3b9c, v49
	v_fmac_f16_e32 v49, 0xbb9c, v51
	v_sub_f16_sdwa v38, v10, v12 dst_sel:DWORD dst_unused:UNUSED_PAD src0_sel:WORD_1 src1_sel:WORD_1
	v_sub_f16_sdwa v53, v14, v11 dst_sel:DWORD dst_unused:UNUSED_PAD src0_sel:WORD_1 src1_sel:WORD_1
	v_fmac_f16_e32 v29, 0xbb9c, v40
	v_pk_add_f16 v9, v9, v11
	v_fmamk_f16 v11, v50, 0xbb9c, v35
	v_fmac_f16_e32 v35, 0x3b9c, v50
	v_pk_add_f16 v8, v8, v10
	v_fmamk_f16 v39, v34, 0x3b9c, v32
	v_fmac_f16_e32 v32, 0xbb9c, v34
	v_fmac_f16_e32 v42, 0x38b4, v41
	v_add_f16_e32 v31, v46, v45
	v_add_f16_e32 v7, v7, v55
	v_fmamk_f16 v37, v22, 0x3b9c, v21
	v_fmac_f16_e32 v21, 0xbb9c, v22
	v_fmac_f16_e32 v43, 0x38b4, v40
	v_fmac_f16_e32 v4, 0xb8b4, v40
	v_fmac_f16_e32 v44, 0xb8b4, v50
	v_fmac_f16_e32 v49, 0x38b4, v50
	v_add_f16_e32 v5, v5, v38
	v_add_f16_e32 v36, v52, v53
	v_fmamk_f16 v38, v23, 0xbb9c, v13
	v_fmac_f16_e32 v13, 0x3b9c, v23
	v_fmac_f16_e32 v29, 0xb8b4, v41
	;; [unrolled: 1-line block ×3, first 2 shown]
	v_fmamk_f16 v10, v33, 0xbb9c, v27
	v_pk_add_f16 v8, v8, v12
	v_fmac_f16_e32 v39, 0xb8b4, v33
	v_fmac_f16_e32 v32, 0x38b4, v33
	v_pk_add_f16 v9, v9, v14
	v_fmac_f16_e32 v11, 0xb8b4, v51
	v_fmac_f16_e32 v42, 0x34f2, v30
	;; [unrolled: 1-line block ×17, first 2 shown]
	v_pk_add_f16 v5, v8, v9
	v_pk_add_f16 v7, v8, v9 neg_lo:[0,1] neg_hi:[0,1]
	v_mul_f16_e32 v8, 0x3a79, v42
	v_mul_f16_e32 v22, 0xb8b4, v42
	v_fmac_f16_e32 v37, 0x34f2, v24
	v_fmac_f16_e32 v21, 0x34f2, v24
	v_mul_f16_e32 v9, 0x3b9c, v44
	v_mul_f16_e32 v12, 0x34f2, v4
	;; [unrolled: 1-line block ×4, first 2 shown]
	v_fmac_f16_e32 v27, 0x38b4, v34
	v_fmac_f16_e32 v38, 0x34f2, v26
	;; [unrolled: 1-line block ×3, first 2 shown]
	v_mul_f16_e32 v14, 0x3a79, v29
	v_mul_f16_e32 v26, 0x3a79, v35
	v_fmac_f16_e32 v10, 0x34f2, v28
	v_fmac_f16_e32 v8, 0x38b4, v11
	;; [unrolled: 1-line block ×4, first 2 shown]
	v_fma_f16 v12, v49, 0x3b9c, -v12
	v_fmac_f16_e32 v23, 0x34f2, v44
	v_fma_f16 v4, v4, 0xbb9c, -v24
	v_fmac_f16_e32 v27, 0x34f2, v28
	v_fma_f16 v14, v35, 0x38b4, -v14
	v_fma_f16 v11, v29, 0xb8b4, -v26
	v_add_f16_e32 v24, v37, v8
	v_add_f16_e32 v30, v10, v22
	;; [unrolled: 1-line block ×8, first 2 shown]
	v_sub_f16_e32 v8, v37, v8
	v_sub_f16_e32 v9, v38, v9
	;; [unrolled: 1-line block ×8, first 2 shown]
	v_pack_b32_f16 v21, v24, v30
	v_pack_b32_f16 v22, v28, v33
	;; [unrolled: 1-line block ×8, first 2 shown]
	ds_write2_b32 v19, v5, v21 offset1:1
	ds_write2_b32 v19, v23, v22 offset0:2 offset1:3
	ds_write2_b32 v19, v24, v7 offset0:4 offset1:5
	;; [unrolled: 1-line block ×4, first 2 shown]
	s_waitcnt lgkmcnt(0)
	s_barrier
	buffer_gl0_inv
	s_clause 0x2
	global_load_dwordx4 v[7:10], v20, s[8:9]
	global_load_dwordx4 v[11:14], v20, s[8:9] offset:16
	global_load_dword v26, v20, s[8:9] offset:32
	ds_read_b32 v27, v6
	ds_read2_b32 v[4:5], v1 offset0:150 offset1:180
	ds_read2_b32 v[19:20], v1 offset0:210 offset1:240
	ds_read_b32 v28, v1 offset:1080
	ds_read2_b32 v[21:22], v1 offset0:30 offset1:60
	ds_read2_b32 v[23:24], v1 offset0:90 offset1:120
	v_mov_b32_e32 v29, 2
	s_waitcnt vmcnt(0) lgkmcnt(0)
	s_barrier
	buffer_gl0_inv
	v_lshlrev_b32_sdwa v25, v29, v25 dst_sel:DWORD dst_unused:UNUSED_PAD src0_sel:DWORD src1_sel:BYTE_0
	v_add_nc_u32_e32 v29, 0x200, v1
	v_add3_u32 v15, v15, v25, v17
	v_lshrrev_b32_e32 v25, 16, v27
	v_lshrrev_b32_e32 v30, 16, v5
	;; [unrolled: 1-line block ×10, first 2 shown]
	v_mul_f16_sdwa v39, v7, v34 dst_sel:DWORD dst_unused:UNUSED_PAD src0_sel:WORD_1 src1_sel:DWORD
	v_mul_f16_sdwa v40, v7, v21 dst_sel:DWORD dst_unused:UNUSED_PAD src0_sel:WORD_1 src1_sel:DWORD
	;; [unrolled: 1-line block ×10, first 2 shown]
	v_mul_f16_sdwa v49, v30, v12 dst_sel:DWORD dst_unused:UNUSED_PAD src0_sel:DWORD src1_sel:WORD_1
	v_mul_f16_sdwa v50, v5, v12 dst_sel:DWORD dst_unused:UNUSED_PAD src0_sel:DWORD src1_sel:WORD_1
	;; [unrolled: 1-line block ×8, first 2 shown]
	v_fma_f16 v21, v7, v21, -v39
	v_fmac_f16_e32 v40, v7, v34
	v_fma_f16 v7, v8, v22, -v41
	v_fmac_f16_e32 v42, v8, v35
	;; [unrolled: 2-line block ×9, first 2 shown]
	v_add_f16_e32 v13, v27, v7
	v_add_f16_e32 v14, v9, v5
	v_sub_f16_e32 v22, v7, v9
	v_sub_f16_e32 v23, v11, v5
	v_add_f16_e32 v24, v7, v11
	v_add_f16_e32 v30, v25, v42
	;; [unrolled: 1-line block ×9, first 2 shown]
	v_sub_f16_e32 v26, v9, v7
	v_sub_f16_e32 v28, v5, v11
	;; [unrolled: 1-line block ×9, first 2 shown]
	v_add_f16_e32 v53, v40, v44
	v_sub_f16_e32 v8, v8, v12
	v_sub_f16_e32 v57, v4, v10
	v_add_f16_e32 v9, v13, v9
	v_fma_f16 v13, -0.5, v14, v27
	v_add_f16_e32 v14, v22, v23
	v_fmac_f16_e32 v27, -0.5, v24
	v_add_f16_e32 v23, v30, v46
	v_fma_f16 v24, -0.5, v31, v25
	v_fmac_f16_e32 v25, -0.5, v35
	v_add_f16_e32 v4, v38, v4
	v_fma_f16 v30, -0.5, v39, v21
	v_fma_f16 v35, -0.5, v55, v40
	v_sub_f16_e32 v19, v42, v54
	v_sub_f16_e32 v36, v46, v42
	;; [unrolled: 1-line block ×7, first 2 shown]
	v_fmac_f16_e32 v21, -0.5, v47
	v_fmac_f16_e32 v40, -0.5, v60
	v_sub_f16_e32 v51, v10, v12
	v_sub_f16_e32 v59, v56, v52
	v_add_f16_e32 v22, v26, v28
	v_add_f16_e32 v26, v33, v34
	;; [unrolled: 1-line block ×5, first 2 shown]
	v_fmamk_f16 v10, v41, 0x3b9c, v30
	v_fmamk_f16 v45, v8, 0xbb9c, v35
	v_sub_f16_e32 v20, v46, v50
	v_add_f16_e32 v28, v36, v37
	v_add_f16_e32 v37, v44, v61
	v_fmamk_f16 v44, v42, 0xbb9c, v21
	v_fmac_f16_e32 v21, 0x3b9c, v42
	v_fmamk_f16 v46, v57, 0x3b9c, v40
	v_fmac_f16_e32 v40, 0xbb9c, v57
	v_sub_f16_e32 v7, v7, v11
	v_fmac_f16_e32 v30, 0xbb9c, v41
	v_fmac_f16_e32 v35, 0x3b9c, v8
	v_add_f16_e32 v36, v58, v59
	v_add_f16_e32 v5, v9, v5
	;; [unrolled: 1-line block ×3, first 2 shown]
	v_fmamk_f16 v43, v32, 0x3b9c, v25
	v_fmac_f16_e32 v25, 0xbb9c, v32
	v_add_f16_e32 v34, v34, v52
	v_fmac_f16_e32 v10, 0x38b4, v42
	v_fmac_f16_e32 v45, 0xb8b4, v57
	v_add_f16_e32 v33, v49, v51
	v_fmamk_f16 v9, v19, 0x3b9c, v13
	v_fmac_f16_e32 v13, 0xbb9c, v19
	v_fmamk_f16 v38, v20, 0xbb9c, v27
	v_fmac_f16_e32 v27, 0x3b9c, v20
	v_fmac_f16_e32 v44, 0x38b4, v41
	;; [unrolled: 1-line block ×5, first 2 shown]
	v_fmamk_f16 v39, v7, 0xbb9c, v24
	v_fmac_f16_e32 v24, 0x3b9c, v7
	v_fmac_f16_e32 v30, 0xb8b4, v42
	;; [unrolled: 1-line block ×3, first 2 shown]
	v_add_f16_e32 v5, v5, v11
	v_add_f16_e32 v11, v23, v54
	v_fmac_f16_e32 v43, 0xb8b4, v7
	v_fmac_f16_e32 v25, 0x38b4, v7
	v_add_f16_e32 v4, v4, v12
	v_add_f16_e32 v7, v34, v56
	v_fmac_f16_e32 v10, 0x34f2, v31
	v_fmac_f16_e32 v45, 0x34f2, v36
	;; [unrolled: 1-line block ×14, first 2 shown]
	v_add_f16_e32 v8, v5, v4
	v_add_f16_e32 v12, v11, v7
	v_sub_f16_e32 v4, v5, v4
	v_sub_f16_e32 v5, v11, v7
	v_mul_f16_e32 v7, 0x38b4, v45
	v_mul_f16_e32 v20, 0xb8b4, v10
	v_fmac_f16_e32 v9, 0x34f2, v14
	v_fmac_f16_e32 v13, 0x34f2, v14
	;; [unrolled: 1-line block ×4, first 2 shown]
	v_mul_f16_e32 v11, 0x3b9c, v46
	v_mul_f16_e32 v14, 0x34f2, v21
	;; [unrolled: 1-line block ×4, first 2 shown]
	v_fmac_f16_e32 v39, 0x34f2, v26
	v_fmac_f16_e32 v24, 0x34f2, v26
	v_mul_f16_e32 v19, 0x3a79, v30
	v_mul_f16_e32 v26, 0x3a79, v35
	v_fmac_f16_e32 v7, 0x3a79, v10
	v_fmac_f16_e32 v20, 0x3a79, v45
	;; [unrolled: 1-line block ×4, first 2 shown]
	v_pack_b32_f16 v8, v8, v12
	v_pack_b32_f16 v5, v4, v5
	v_fmac_f16_e32 v11, 0x34f2, v44
	v_fma_f16 v4, v40, 0x3b9c, -v14
	v_fmac_f16_e32 v22, 0x34f2, v46
	v_fma_f16 v12, v21, 0xbb9c, -v23
	v_fma_f16 v10, v35, 0x38b4, -v19
	;; [unrolled: 1-line block ×3, first 2 shown]
	v_add_f16_e32 v21, v9, v7
	v_add_f16_e32 v30, v39, v20
	;; [unrolled: 1-line block ×8, first 2 shown]
	v_sub_f16_e32 v7, v9, v7
	v_sub_f16_e32 v9, v38, v11
	;; [unrolled: 1-line block ×8, first 2 shown]
	v_pack_b32_f16 v14, v21, v30
	v_pack_b32_f16 v20, v23, v31
	;; [unrolled: 1-line block ×8, first 2 shown]
	ds_write2_b32 v15, v8, v14 offset1:10
	ds_write2_b32 v15, v20, v21 offset0:20 offset1:30
	ds_write2_b32 v15, v22, v5 offset0:40 offset1:50
	;; [unrolled: 1-line block ×4, first 2 shown]
	s_waitcnt lgkmcnt(0)
	s_barrier
	buffer_gl0_inv
	ds_read_b32 v23, v6
	ds_read2_b32 v[14:15], v1 offset0:100 offset1:130
	ds_read2_b32 v[10:11], v1 offset0:160 offset1:200
	;; [unrolled: 1-line block ×4, first 2 shown]
	v_mul_i32_i24_e32 v24, 0xffffffdc, v0
                                        ; implicit-def: $vgpr21
                                        ; implicit-def: $vgpr20
                                        ; implicit-def: $vgpr22
	s_and_saveexec_b32 s1, s0
	s_cbranch_execz .LBB0_19
; %bb.18:
	ds_read2_b32 v[4:5], v1 offset0:90 offset1:190
	ds_read_b32 v20, v1 offset:1160
	s_waitcnt lgkmcnt(1)
	v_lshrrev_b32_e32 v19, 16, v4
	s_waitcnt lgkmcnt(0)
	v_lshrrev_b32_e32 v21, 16, v20
	v_lshrrev_b32_e32 v22, 16, v5
.LBB0_19:
	s_or_b32 exec_lo, exec_lo, s1
	v_lshlrev_b32_e32 v8, 1, v0
	v_mov_b32_e32 v9, 0
	s_waitcnt lgkmcnt(3)
	v_lshrrev_b32_e32 v34, 16, v14
	s_waitcnt lgkmcnt(2)
	v_lshrrev_b32_e32 v36, 16, v11
	;; [unrolled: 2-line block ×3, first 2 shown]
	v_add_nc_u32_e32 v27, 60, v8
	v_mov_b32_e32 v28, v9
	v_lshlrev_b64 v[25:26], 2, v[8:9]
	v_add_nc_u32_e32 v8, 0x78, v8
	v_lshrrev_b32_e32 v35, 16, v15
	v_lshrrev_b32_e32 v32, 16, v10
	v_lshlrev_b64 v[27:28], 2, v[27:28]
	v_lshrrev_b32_e32 v33, 16, v12
	v_add_co_u32 v25, s1, s8, v25
	v_lshlrev_b64 v[29:30], 2, v[8:9]
	v_add_co_ci_u32_e64 v26, s1, s9, v26, s1
	v_add_co_u32 v27, s1, s8, v27
	v_add_co_ci_u32_e64 v28, s1, s9, v28, s1
	v_add_co_u32 v29, s1, s8, v29
	global_load_dwordx2 v[25:26], v[25:26], off offset:360
	v_add_co_ci_u32_e64 v30, s1, s9, v30, s1
	s_clause 0x1
	global_load_dwordx2 v[27:28], v[27:28], off offset:360
	global_load_dwordx2 v[29:30], v[29:30], off offset:360
	v_add3_u32 v8, v18, v24, v17
	v_lshrrev_b32_e32 v17, 16, v23
	v_lshrrev_b32_e32 v18, 16, v6
	;; [unrolled: 1-line block ×3, first 2 shown]
	s_waitcnt vmcnt(0)
	s_barrier
	buffer_gl0_inv
	v_mul_f16_sdwa v37, v25, v34 dst_sel:DWORD dst_unused:UNUSED_PAD src0_sel:WORD_1 src1_sel:DWORD
	v_mul_f16_sdwa v38, v25, v14 dst_sel:DWORD dst_unused:UNUSED_PAD src0_sel:WORD_1 src1_sel:DWORD
	v_mul_f16_sdwa v39, v26, v36 dst_sel:DWORD dst_unused:UNUSED_PAD src0_sel:WORD_1 src1_sel:DWORD
	v_mul_f16_sdwa v40, v26, v11 dst_sel:DWORD dst_unused:UNUSED_PAD src0_sel:WORD_1 src1_sel:DWORD
	v_fma_f16 v14, v25, v14, -v37
	v_fmac_f16_e32 v38, v25, v34
	v_fma_f16 v11, v26, v11, -v39
	v_fmac_f16_e32 v40, v26, v36
	v_mul_f16_sdwa v25, v27, v35 dst_sel:DWORD dst_unused:UNUSED_PAD src0_sel:WORD_1 src1_sel:DWORD
	v_mul_f16_sdwa v26, v27, v15 dst_sel:DWORD dst_unused:UNUSED_PAD src0_sel:WORD_1 src1_sel:DWORD
	;; [unrolled: 1-line block ×8, first 2 shown]
	v_fma_f16 v15, v27, v15, -v25
	v_fmac_f16_e32 v26, v27, v35
	v_fma_f16 v13, v30, v13, -v41
	v_fmac_f16_e32 v42, v30, v31
	v_add_f16_e32 v27, v14, v11
	v_add_f16_e32 v30, v38, v40
	v_fma_f16 v12, v28, v12, -v34
	v_fma_f16 v10, v29, v10, -v37
	v_fmac_f16_e32 v39, v29, v32
	v_add_f16_e32 v25, v23, v14
	v_add_f16_e32 v29, v17, v38
	v_fmac_f16_e32 v36, v28, v33
	v_sub_f16_e32 v28, v38, v40
	v_sub_f16_e32 v14, v14, v11
	v_fmac_f16_e32 v23, -0.5, v27
	v_fmac_f16_e32 v17, -0.5, v30
	v_add_f16_e32 v27, v6, v15
	v_add_f16_e32 v31, v18, v26
	;; [unrolled: 1-line block ×5, first 2 shown]
	v_sub_f16_e32 v30, v26, v36
	v_add_f16_e32 v26, v26, v36
	v_add_f16_e32 v32, v7, v10
	;; [unrolled: 1-line block ×5, first 2 shown]
	v_fmamk_f16 v38, v28, 0x3aee, v23
	v_fmac_f16_e32 v23, 0xbaee, v28
	v_fmamk_f16 v28, v14, 0xbaee, v17
	v_fmac_f16_e32 v17, 0x3aee, v14
	v_sub_f16_e32 v15, v15, v12
	v_add_f16_e32 v12, v27, v12
	v_add_f16_e32 v14, v31, v36
	v_fma_f16 v6, -0.5, v29, v6
	v_fmac_f16_e32 v18, -0.5, v26
	v_sub_f16_e32 v34, v39, v42
	v_sub_f16_e32 v10, v10, v13
	v_add_f16_e32 v13, v32, v13
	v_fmac_f16_e32 v7, -0.5, v33
	v_add_f16_e32 v26, v35, v42
	v_fmac_f16_e32 v24, -0.5, v37
	v_pack_b32_f16 v28, v38, v28
	v_pack_b32_f16 v17, v23, v17
	v_pack_b32_f16 v11, v11, v25
	v_pack_b32_f16 v12, v12, v14
	v_fmamk_f16 v25, v30, 0x3aee, v6
	v_fmamk_f16 v27, v15, 0xbaee, v18
	v_fmac_f16_e32 v6, 0xbaee, v30
	v_fmac_f16_e32 v18, 0x3aee, v15
	v_fmamk_f16 v15, v34, 0x3aee, v7
	v_fmac_f16_e32 v7, 0xbaee, v34
	v_fmamk_f16 v14, v10, 0xbaee, v24
	v_fmac_f16_e32 v24, 0x3aee, v10
	v_pack_b32_f16 v10, v13, v26
	ds_write2_b32 v1, v28, v17 offset0:100 offset1:200
	ds_write2_b32 v1, v11, v12 offset1:30
	ds_write_b16 v8, v25 offset:520
	ds_write_b16 v8, v27 offset:522
	;; [unrolled: 1-line block ×4, first 2 shown]
	ds_write_b32 v1, v10 offset:240
	ds_write_b16 v8, v15 offset:640
	ds_write_b16 v8, v14 offset:642
	;; [unrolled: 1-line block ×4, first 2 shown]
	s_and_saveexec_b32 s1, s0
	s_cbranch_execz .LBB0_21
; %bb.20:
	v_cndmask_b32_e64 v6, -10, 0x5a, s0
	v_add_lshl_u32 v8, v0, v6, 1
	v_lshlrev_b64 v[6:7], 2, v[8:9]
	v_add_co_u32 v6, s0, s8, v6
	v_add_co_ci_u32_e64 v7, s0, s9, v7, s0
	global_load_dwordx2 v[6:7], v[6:7], off offset:360
	s_waitcnt vmcnt(0)
	v_mul_f16_sdwa v8, v22, v6 dst_sel:DWORD dst_unused:UNUSED_PAD src0_sel:DWORD src1_sel:WORD_1
	v_mul_f16_sdwa v9, v5, v6 dst_sel:DWORD dst_unused:UNUSED_PAD src0_sel:DWORD src1_sel:WORD_1
	;; [unrolled: 1-line block ×4, first 2 shown]
	v_fma_f16 v5, v5, v6, -v8
	v_fmac_f16_e32 v9, v22, v6
	v_fmac_f16_e32 v10, v21, v7
	v_fma_f16 v6, v20, v7, -v11
	v_add_f16_e32 v12, v19, v9
	v_add_f16_e32 v7, v9, v10
	;; [unrolled: 1-line block ×3, first 2 shown]
	v_sub_f16_e32 v8, v5, v6
	v_add_f16_e32 v5, v4, v5
	v_sub_f16_e32 v9, v9, v10
	v_fma_f16 v7, -0.5, v7, v19
	v_fma_f16 v4, -0.5, v11, v4
	v_add_f16_e32 v10, v12, v10
	v_add_f16_e32 v5, v5, v6
	v_fmamk_f16 v6, v8, 0x3aee, v7
	v_fmac_f16_e32 v7, 0xbaee, v8
	v_fmamk_f16 v8, v9, 0xbaee, v4
	v_fmac_f16_e32 v4, 0x3aee, v9
	v_pack_b32_f16 v5, v5, v10
	v_pack_b32_f16 v6, v8, v6
	;; [unrolled: 1-line block ×3, first 2 shown]
	ds_write2_b32 v1, v5, v4 offset0:90 offset1:190
	ds_write_b32 v1, v6 offset:1160
.LBB0_21:
	s_or_b32 exec_lo, exec_lo, s1
	s_waitcnt lgkmcnt(0)
	s_barrier
	buffer_gl0_inv
	s_and_saveexec_b32 s0, vcc_lo
	s_cbranch_execz .LBB0_23
; %bb.22:
	v_lshl_add_u32 v18, v0, 2, v16
	v_mov_b32_e32 v1, 0
	v_add_co_u32 v19, vcc_lo, s2, v2
	v_add_co_ci_u32_e32 v20, vcc_lo, s3, v3, vcc_lo
	ds_read2_b32 v[4:5], v18 offset1:30
	v_lshlrev_b64 v[10:11], 2, v[0:1]
	v_add_nc_u32_e32 v2, 30, v0
	v_mov_b32_e32 v3, v1
	v_add_nc_u32_e32 v6, 60, v0
	v_mov_b32_e32 v7, v1
	ds_read2_b32 v[12:13], v18 offset0:60 offset1:90
	v_add_co_u32 v10, vcc_lo, v19, v10
	v_add_co_ci_u32_e32 v11, vcc_lo, v20, v11, vcc_lo
	v_lshlrev_b64 v[2:3], 2, v[2:3]
	v_add_nc_u32_e32 v8, 0x5a, v0
	v_mov_b32_e32 v9, v1
	ds_read2_b32 v[14:15], v18 offset0:120 offset1:150
	v_lshlrev_b64 v[6:7], 2, v[6:7]
	v_add_nc_u32_e32 v16, 0x96, v0
	v_add_co_u32 v2, vcc_lo, v19, v2
	v_lshlrev_b64 v[8:9], 2, v[8:9]
	s_waitcnt lgkmcnt(2)
	global_store_dword v[10:11], v4, off
	v_add_nc_u32_e32 v10, 0x78, v0
	v_mov_b32_e32 v11, v1
	v_add_co_ci_u32_e32 v3, vcc_lo, v20, v3, vcc_lo
	v_add_co_u32 v6, vcc_lo, v19, v6
	v_lshlrev_b64 v[10:11], 2, v[10:11]
	v_add_co_ci_u32_e32 v7, vcc_lo, v20, v7, vcc_lo
	v_add_co_u32 v8, vcc_lo, v19, v8
	v_add_co_ci_u32_e32 v9, vcc_lo, v20, v9, vcc_lo
	v_add_co_u32 v10, vcc_lo, v19, v10
	v_mov_b32_e32 v17, v1
	v_add_co_ci_u32_e32 v11, vcc_lo, v20, v11, vcc_lo
	global_store_dword v[2:3], v5, off
	s_waitcnt lgkmcnt(1)
	global_store_dword v[6:7], v12, off
	global_store_dword v[8:9], v13, off
	s_waitcnt lgkmcnt(0)
	global_store_dword v[10:11], v14, off
	v_add_nc_u32_e32 v4, 0xb4, v0
	v_mov_b32_e32 v5, v1
	v_add_nc_u32_e32 v12, 0x200, v18
	v_lshlrev_b64 v[2:3], 2, v[16:17]
	v_add_nc_u32_e32 v6, 0xd2, v0
	v_mov_b32_e32 v7, v1
	ds_read2_b32 v[8:9], v18 offset0:180 offset1:210
	v_lshlrev_b64 v[4:5], 2, v[4:5]
	v_add_nc_u32_e32 v10, 0xf0, v0
	v_mov_b32_e32 v11, v1
	ds_read2_b32 v[12:13], v12 offset0:112 offset1:142
	v_add_co_u32 v2, vcc_lo, v19, v2
	v_lshlrev_b64 v[6:7], 2, v[6:7]
	v_add_nc_u32_e32 v0, 0x10e, v0
	v_add_co_ci_u32_e32 v3, vcc_lo, v20, v3, vcc_lo
	v_add_co_u32 v4, vcc_lo, v19, v4
	v_lshlrev_b64 v[10:11], 2, v[10:11]
	v_add_co_ci_u32_e32 v5, vcc_lo, v20, v5, vcc_lo
	v_add_co_u32 v6, vcc_lo, v19, v6
	v_lshlrev_b64 v[0:1], 2, v[0:1]
	v_add_co_ci_u32_e32 v7, vcc_lo, v20, v7, vcc_lo
	v_add_co_u32 v10, vcc_lo, v19, v10
	v_add_co_ci_u32_e32 v11, vcc_lo, v20, v11, vcc_lo
	v_add_co_u32 v0, vcc_lo, v19, v0
	v_add_co_ci_u32_e32 v1, vcc_lo, v20, v1, vcc_lo
	global_store_dword v[2:3], v15, off
	s_waitcnt lgkmcnt(1)
	global_store_dword v[4:5], v8, off
	global_store_dword v[6:7], v9, off
	s_waitcnt lgkmcnt(0)
	global_store_dword v[10:11], v12, off
	global_store_dword v[0:1], v13, off
.LBB0_23:
	s_endpgm
	.section	.rodata,"a",@progbits
	.p2align	6, 0x0
	.amdhsa_kernel fft_rtc_fwd_len300_factors_10_10_3_wgs_60_tpt_30_halfLds_half_ip_CI_unitstride_sbrr_C2R_dirReg
		.amdhsa_group_segment_fixed_size 0
		.amdhsa_private_segment_fixed_size 0
		.amdhsa_kernarg_size 88
		.amdhsa_user_sgpr_count 6
		.amdhsa_user_sgpr_private_segment_buffer 1
		.amdhsa_user_sgpr_dispatch_ptr 0
		.amdhsa_user_sgpr_queue_ptr 0
		.amdhsa_user_sgpr_kernarg_segment_ptr 1
		.amdhsa_user_sgpr_dispatch_id 0
		.amdhsa_user_sgpr_flat_scratch_init 0
		.amdhsa_user_sgpr_private_segment_size 0
		.amdhsa_wavefront_size32 1
		.amdhsa_uses_dynamic_stack 0
		.amdhsa_system_sgpr_private_segment_wavefront_offset 0
		.amdhsa_system_sgpr_workgroup_id_x 1
		.amdhsa_system_sgpr_workgroup_id_y 0
		.amdhsa_system_sgpr_workgroup_id_z 0
		.amdhsa_system_sgpr_workgroup_info 0
		.amdhsa_system_vgpr_workitem_id 0
		.amdhsa_next_free_vgpr 62
		.amdhsa_next_free_sgpr 21
		.amdhsa_reserve_vcc 1
		.amdhsa_reserve_flat_scratch 0
		.amdhsa_float_round_mode_32 0
		.amdhsa_float_round_mode_16_64 0
		.amdhsa_float_denorm_mode_32 3
		.amdhsa_float_denorm_mode_16_64 3
		.amdhsa_dx10_clamp 1
		.amdhsa_ieee_mode 1
		.amdhsa_fp16_overflow 0
		.amdhsa_workgroup_processor_mode 1
		.amdhsa_memory_ordered 1
		.amdhsa_forward_progress 0
		.amdhsa_shared_vgpr_count 0
		.amdhsa_exception_fp_ieee_invalid_op 0
		.amdhsa_exception_fp_denorm_src 0
		.amdhsa_exception_fp_ieee_div_zero 0
		.amdhsa_exception_fp_ieee_overflow 0
		.amdhsa_exception_fp_ieee_underflow 0
		.amdhsa_exception_fp_ieee_inexact 0
		.amdhsa_exception_int_div_zero 0
	.end_amdhsa_kernel
	.text
.Lfunc_end0:
	.size	fft_rtc_fwd_len300_factors_10_10_3_wgs_60_tpt_30_halfLds_half_ip_CI_unitstride_sbrr_C2R_dirReg, .Lfunc_end0-fft_rtc_fwd_len300_factors_10_10_3_wgs_60_tpt_30_halfLds_half_ip_CI_unitstride_sbrr_C2R_dirReg
                                        ; -- End function
	.section	.AMDGPU.csdata,"",@progbits
; Kernel info:
; codeLenInByte = 6608
; NumSgprs: 23
; NumVgprs: 62
; ScratchSize: 0
; MemoryBound: 0
; FloatMode: 240
; IeeeMode: 1
; LDSByteSize: 0 bytes/workgroup (compile time only)
; SGPRBlocks: 2
; VGPRBlocks: 7
; NumSGPRsForWavesPerEU: 23
; NumVGPRsForWavesPerEU: 62
; Occupancy: 16
; WaveLimiterHint : 1
; COMPUTE_PGM_RSRC2:SCRATCH_EN: 0
; COMPUTE_PGM_RSRC2:USER_SGPR: 6
; COMPUTE_PGM_RSRC2:TRAP_HANDLER: 0
; COMPUTE_PGM_RSRC2:TGID_X_EN: 1
; COMPUTE_PGM_RSRC2:TGID_Y_EN: 0
; COMPUTE_PGM_RSRC2:TGID_Z_EN: 0
; COMPUTE_PGM_RSRC2:TIDIG_COMP_CNT: 0
	.text
	.p2alignl 6, 3214868480
	.fill 48, 4, 3214868480
	.type	__hip_cuid_9eaa3d00056156e3,@object ; @__hip_cuid_9eaa3d00056156e3
	.section	.bss,"aw",@nobits
	.globl	__hip_cuid_9eaa3d00056156e3
__hip_cuid_9eaa3d00056156e3:
	.byte	0                               ; 0x0
	.size	__hip_cuid_9eaa3d00056156e3, 1

	.ident	"AMD clang version 19.0.0git (https://github.com/RadeonOpenCompute/llvm-project roc-6.4.0 25133 c7fe45cf4b819c5991fe208aaa96edf142730f1d)"
	.section	".note.GNU-stack","",@progbits
	.addrsig
	.addrsig_sym __hip_cuid_9eaa3d00056156e3
	.amdgpu_metadata
---
amdhsa.kernels:
  - .args:
      - .actual_access:  read_only
        .address_space:  global
        .offset:         0
        .size:           8
        .value_kind:     global_buffer
      - .offset:         8
        .size:           8
        .value_kind:     by_value
      - .actual_access:  read_only
        .address_space:  global
        .offset:         16
        .size:           8
        .value_kind:     global_buffer
      - .actual_access:  read_only
        .address_space:  global
        .offset:         24
        .size:           8
        .value_kind:     global_buffer
      - .offset:         32
        .size:           8
        .value_kind:     by_value
      - .actual_access:  read_only
        .address_space:  global
        .offset:         40
        .size:           8
        .value_kind:     global_buffer
      - .actual_access:  read_only
        .address_space:  global
        .offset:         48
        .size:           8
        .value_kind:     global_buffer
      - .offset:         56
        .size:           4
        .value_kind:     by_value
      - .actual_access:  read_only
        .address_space:  global
        .offset:         64
        .size:           8
        .value_kind:     global_buffer
      - .actual_access:  read_only
        .address_space:  global
        .offset:         72
        .size:           8
        .value_kind:     global_buffer
      - .address_space:  global
        .offset:         80
        .size:           8
        .value_kind:     global_buffer
    .group_segment_fixed_size: 0
    .kernarg_segment_align: 8
    .kernarg_segment_size: 88
    .language:       OpenCL C
    .language_version:
      - 2
      - 0
    .max_flat_workgroup_size: 60
    .name:           fft_rtc_fwd_len300_factors_10_10_3_wgs_60_tpt_30_halfLds_half_ip_CI_unitstride_sbrr_C2R_dirReg
    .private_segment_fixed_size: 0
    .sgpr_count:     23
    .sgpr_spill_count: 0
    .symbol:         fft_rtc_fwd_len300_factors_10_10_3_wgs_60_tpt_30_halfLds_half_ip_CI_unitstride_sbrr_C2R_dirReg.kd
    .uniform_work_group_size: 1
    .uses_dynamic_stack: false
    .vgpr_count:     62
    .vgpr_spill_count: 0
    .wavefront_size: 32
    .workgroup_processor_mode: 1
amdhsa.target:   amdgcn-amd-amdhsa--gfx1030
amdhsa.version:
  - 1
  - 2
...

	.end_amdgpu_metadata
